;; amdgpu-corpus repo=ROCm/rocFFT kind=compiled arch=gfx1030 opt=O3
	.text
	.amdgcn_target "amdgcn-amd-amdhsa--gfx1030"
	.amdhsa_code_object_version 6
	.protected	bluestein_single_back_len1152_dim1_dp_op_CI_CI ; -- Begin function bluestein_single_back_len1152_dim1_dp_op_CI_CI
	.globl	bluestein_single_back_len1152_dim1_dp_op_CI_CI
	.p2align	8
	.type	bluestein_single_back_len1152_dim1_dp_op_CI_CI,@function
bluestein_single_back_len1152_dim1_dp_op_CI_CI: ; @bluestein_single_back_len1152_dim1_dp_op_CI_CI
; %bb.0:
	s_load_dwordx4 s[16:19], s[4:5], 0x28
	v_mul_u32_u24_e32 v1, 0x1c8, v0
	v_mov_b32_e32 v153, 0
	s_mov_b32 s0, exec_lo
	v_lshrrev_b32_e32 v1, 16, v1
	v_add_nc_u32_e32 v152, s6, v1
	s_waitcnt lgkmcnt(0)
	v_cmpx_gt_u64_e64 s[16:17], v[152:153]
	s_cbranch_execz .LBB0_18
; %bb.1:
	s_clause 0x1
	s_load_dwordx4 s[0:3], s[4:5], 0x18
	s_load_dwordx4 s[12:15], s[4:5], 0x0
	v_mul_lo_u16 v1, 0x90, v1
	v_sub_nc_u16 v32, v0, v1
	v_and_b32_e32 v154, 0xffff, v32
	v_lshlrev_b32_e32 v153, 4, v154
	s_waitcnt lgkmcnt(0)
	s_load_dwordx4 s[8:11], s[0:1], 0x0
	v_add_co_u32 v14, s0, s12, v153
	v_add_co_ci_u32_e64 v15, null, s13, 0, s0
	global_load_dwordx4 v[0:3], v153, s[12:13]
	s_waitcnt lgkmcnt(0)
	v_mad_u64_u32 v[4:5], null, s10, v152, 0
	v_mad_u64_u32 v[6:7], null, s8, v154, 0
	s_mul_i32 s0, s9, 0x1200
	s_mul_hi_u32 s1, s8, 0x1200
	s_mul_i32 s6, s8, 0x1200
	s_add_i32 s1, s1, s0
	s_mul_i32 s0, s9, 0xffffd300
	v_mad_u64_u32 v[8:9], null, s11, v152, v[5:6]
	v_add_co_u32 v9, vcc_lo, 0x1000, v14
	v_add_co_ci_u32_e32 v10, vcc_lo, 0, v15, vcc_lo
	s_sub_i32 s0, s0, s8
	v_mad_u64_u32 v[11:12], null, s9, v154, v[7:8]
	v_mov_b32_e32 v5, v8
	v_add_co_u32 v12, vcc_lo, 0x2000, v14
	v_add_co_ci_u32_e32 v13, vcc_lo, 0, v15, vcc_lo
	v_add_co_u32 v16, vcc_lo, 0x3000, v14
	v_mov_b32_e32 v7, v11
	v_lshlrev_b64 v[4:5], 4, v[4:5]
	v_add_co_ci_u32_e32 v17, vcc_lo, 0, v15, vcc_lo
	v_add_co_u32 v24, vcc_lo, 0x800, v14
	v_add_co_ci_u32_e32 v25, vcc_lo, 0, v15, vcc_lo
	v_lshlrev_b64 v[6:7], 4, v[6:7]
	v_add_co_u32 v4, vcc_lo, s18, v4
	v_add_co_ci_u32_e32 v5, vcc_lo, s19, v5, vcc_lo
	v_add_co_u32 v26, vcc_lo, v4, v6
	v_add_co_ci_u32_e32 v27, vcc_lo, v5, v7, vcc_lo
	;; [unrolled: 2-line block ×8, first 2 shown]
	v_mad_u64_u32 v[49:50], null, 0xffffd300, s8, v[45:46]
	s_clause 0x4
	global_load_dwordx4 v[20:23], v[9:10], off offset:512
	global_load_dwordx4 v[12:15], v[12:13], off offset:1024
	;; [unrolled: 1-line block ×5, first 2 shown]
	s_clause 0x3
	global_load_dwordx4 v[33:36], v[26:27], off
	global_load_dwordx4 v[37:40], v[28:29], off
	;; [unrolled: 1-line block ×4, first 2 shown]
	v_add_nc_u32_e32 v50, s0, v50
	v_add_co_u32 v24, vcc_lo, v49, s6
	v_add_co_ci_u32_e32 v25, vcc_lo, s1, v50, vcc_lo
	v_add_co_u32 v28, vcc_lo, v24, s6
	global_load_dwordx4 v[49:52], v[49:50], off
	v_add_co_ci_u32_e32 v29, vcc_lo, s1, v25, vcc_lo
	v_add_co_u32 v63, vcc_lo, v28, s6
	v_add_co_ci_u32_e32 v64, vcc_lo, s1, v29, vcc_lo
	global_load_dwordx4 v[53:56], v[24:25], off
	global_load_dwordx4 v[24:27], v[57:58], off offset:1280
	global_load_dwordx4 v[57:60], v[28:29], off
	global_load_dwordx4 v[28:31], v[61:62], off offset:1792
	global_load_dwordx4 v[61:64], v[63:64], off
	s_load_dwordx4 s[8:11], s[2:3], 0x0
	s_load_dwordx2 s[2:3], s[4:5], 0x38
	v_cmp_gt_u16_e32 vcc_lo, 0x60, v32
	s_waitcnt vmcnt(9)
	v_mul_f64 v[65:66], v[35:36], v[2:3]
	v_mul_f64 v[67:68], v[33:34], v[2:3]
	s_waitcnt vmcnt(8)
	v_mul_f64 v[69:70], v[39:40], v[22:23]
	v_mul_f64 v[71:72], v[37:38], v[22:23]
	;; [unrolled: 3-line block ×8, first 2 shown]
	v_fma_f64 v[33:34], v[33:34], v[0:1], v[65:66]
	v_fma_f64 v[35:36], v[35:36], v[0:1], -v[67:68]
	v_fma_f64 v[37:38], v[37:38], v[20:21], v[69:70]
	v_fma_f64 v[39:40], v[39:40], v[20:21], -v[71:72]
	;; [unrolled: 2-line block ×8, first 2 shown]
	ds_write_b128 v153, v[33:36]
	ds_write_b128 v153, v[37:40] offset:4608
	ds_write_b128 v153, v[41:44] offset:9216
	;; [unrolled: 1-line block ×7, first 2 shown]
	s_waitcnt lgkmcnt(0)
	s_barrier
	buffer_gl0_inv
	ds_read_b128 v[33:36], v153 offset:9216
	ds_read_b128 v[37:40], v153
	ds_read_b128 v[41:44], v153 offset:4608
	ds_read_b128 v[45:48], v153 offset:13824
	ds_read_b128 v[49:52], v153 offset:2304
	ds_read_b128 v[53:56], v153 offset:11520
	ds_read_b128 v[57:60], v153 offset:6912
	ds_read_b128 v[61:64], v153 offset:16128
	s_waitcnt lgkmcnt(0)
	s_barrier
	buffer_gl0_inv
	v_add_f64 v[65:66], v[37:38], -v[33:34]
	v_add_f64 v[67:68], v[39:40], -v[35:36]
	;; [unrolled: 1-line block ×8, first 2 shown]
	v_fma_f64 v[37:38], v[37:38], 2.0, -v[65:66]
	v_fma_f64 v[62:63], v[39:40], 2.0, -v[67:68]
	;; [unrolled: 1-line block ×8, first 2 shown]
	v_add_f64 v[33:34], v[65:66], -v[33:34]
	v_add_f64 v[35:36], v[67:68], v[35:36]
	v_add_f64 v[52:53], v[69:70], -v[47:48]
	v_add_f64 v[54:55], v[71:72], v[45:46]
	v_add_f64 v[44:45], v[37:38], -v[39:40]
	v_add_f64 v[46:47], v[62:63], -v[41:42]
	;; [unrolled: 1-line block ×4, first 2 shown]
	v_fma_f64 v[48:49], v[65:66], 2.0, -v[33:34]
	v_fma_f64 v[50:51], v[67:68], 2.0, -v[35:36]
	;; [unrolled: 1-line block ×6, first 2 shown]
	v_mov_b32_e32 v37, 4
	v_lshlrev_b16 v38, 2, v32
	v_fma_f64 v[64:65], v[73:74], 2.0, -v[40:41]
	v_fma_f64 v[66:67], v[75:76], 2.0, -v[42:43]
	v_add_co_u32 v76, s0, 0x90, v154
	v_lshlrev_b32_sdwa v128, v37, v38 dst_sel:DWORD dst_unused:UNUSED_PAD src0_sel:DWORD src1_sel:WORD_0
	v_add_co_ci_u32_e64 v39, null, 0, 0, s0
	v_lshlrev_b32_e32 v129, 6, v76
	ds_write_b128 v128, v[33:36] offset:48
	ds_write_b128 v129, v[52:55] offset:48
	;; [unrolled: 1-line block ×6, first 2 shown]
	ds_write_b128 v128, v[60:63]
	ds_write_b128 v129, v[64:67]
	s_waitcnt lgkmcnt(0)
	s_barrier
	buffer_gl0_inv
	ds_read_b128 v[48:51], v153
	ds_read_b128 v[44:47], v153 offset:2304
	ds_read_b128 v[64:67], v153 offset:6144
	;; [unrolled: 1-line block ×5, first 2 shown]
                                        ; implicit-def: $vgpr72_vgpr73
	s_and_saveexec_b32 s0, vcc_lo
	s_cbranch_execz .LBB0_3
; %bb.2:
	ds_read_b128 v[40:43], v153 offset:4608
	ds_read_b128 v[52:55], v153 offset:10752
	;; [unrolled: 1-line block ×3, first 2 shown]
.LBB0_3:
	s_or_b32 exec_lo, exec_lo, s0
	v_and_b32_e32 v155, 3, v154
	s_mov_b32 s0, 0xe8584caa
	s_mov_b32 s1, 0x3febb67a
	;; [unrolled: 1-line block ×4, first 2 shown]
	v_lshlrev_b32_e32 v32, 5, v155
	v_lshrrev_b32_e32 v105, 2, v76
	s_clause 0x1
	global_load_dwordx4 v[36:39], v32, s[14:15]
	global_load_dwordx4 v[32:35], v32, s[14:15] offset:16
	s_waitcnt vmcnt(0) lgkmcnt(0)
	s_barrier
	buffer_gl0_inv
	v_mul_f64 v[77:78], v[66:67], v[38:39]
	v_mul_f64 v[79:80], v[64:65], v[38:39]
	;; [unrolled: 1-line block ×12, first 2 shown]
	v_fma_f64 v[64:65], v[64:65], v[36:37], -v[77:78]
	v_fma_f64 v[66:67], v[66:67], v[36:37], v[79:80]
	v_fma_f64 v[68:69], v[68:69], v[32:33], -v[81:82]
	v_fma_f64 v[70:71], v[70:71], v[32:33], v[83:84]
	;; [unrolled: 2-line block ×6, first 2 shown]
	v_add_f64 v[89:90], v[48:49], v[64:65]
	v_add_f64 v[60:61], v[64:65], v[68:69]
	;; [unrolled: 1-line block ×3, first 2 shown]
	v_add_f64 v[91:92], v[66:67], -v[70:71]
	v_add_f64 v[66:67], v[50:51], v[66:67]
	v_add_f64 v[72:73], v[77:78], v[81:82]
	;; [unrolled: 1-line block ×3, first 2 shown]
	v_add_f64 v[93:94], v[64:65], -v[68:69]
	v_add_f64 v[64:65], v[44:45], v[77:78]
	v_add_f64 v[85:86], v[56:57], v[52:53]
	v_add_f64 v[87:88], v[58:59], v[54:55]
	v_add_f64 v[95:96], v[46:47], v[79:80]
	v_add_f64 v[99:100], v[79:80], -v[83:84]
	v_add_f64 v[101:102], v[77:78], -v[81:82]
	v_fma_f64 v[97:98], v[60:61], -0.5, v[48:49]
	v_fma_f64 v[79:80], v[62:63], -0.5, v[50:51]
	v_add_f64 v[48:49], v[58:59], -v[54:55]
	v_add_f64 v[50:51], v[56:57], -v[52:53]
	v_fma_f64 v[103:104], v[72:73], -0.5, v[44:45]
	v_fma_f64 v[73:74], v[74:75], -0.5, v[46:47]
	v_add_f64 v[60:61], v[89:90], v[68:69]
	v_add_f64 v[62:63], v[66:67], v[70:71]
	v_fma_f64 v[44:45], v[85:86], -0.5, v[40:41]
	v_fma_f64 v[46:47], v[87:88], -0.5, v[42:43]
	v_add_f64 v[66:67], v[95:96], v[83:84]
	v_lshrrev_b32_e32 v75, 2, v154
	v_add_f64 v[64:65], v[64:65], v[81:82]
	v_add_co_u32 v68, null, 0x120, v154
	v_lshrrev_b32_e32 v156, 2, v68
	v_fma_f64 v[69:70], v[91:92], s[0:1], v[97:98]
	v_fma_f64 v[77:78], v[91:92], s[4:5], v[97:98]
	;; [unrolled: 1-line block ×10, first 2 shown]
	v_mul_u32_u24_e32 v73, 12, v75
	v_mul_u32_u24_e32 v74, 12, v105
	v_or_b32_e32 v73, v73, v155
	v_or_b32_e32 v74, v74, v155
	v_lshlrev_b32_e32 v159, 4, v73
	v_lshlrev_b32_e32 v158, 4, v74
	ds_write_b128 v159, v[60:63]
	ds_write_b128 v159, v[69:72] offset:64
	ds_write_b128 v159, v[77:80] offset:128
	ds_write_b128 v158, v[64:67]
	ds_write_b128 v158, v[81:84] offset:64
	ds_write_b128 v158, v[85:88] offset:128
	s_and_saveexec_b32 s4, vcc_lo
	s_cbranch_execz .LBB0_5
; %bb.4:
	v_mul_f64 v[50:51], v[50:51], s[0:1]
	v_add_f64 v[58:59], v[42:43], v[58:59]
	v_add_f64 v[40:41], v[40:41], v[56:57]
	v_mul_f64 v[56:57], v[48:49], s[0:1]
	v_add_f64 v[42:43], v[46:47], -v[50:51]
	v_add_f64 v[48:49], v[58:59], v[54:55]
	v_add_f64 v[46:47], v[40:41], v[52:53]
	;; [unrolled: 1-line block ×3, first 2 shown]
	v_mul_u32_u24_e32 v44, 12, v156
	v_or_b32_e32 v44, v44, v155
	v_lshlrev_b32_e32 v44, 4, v44
	ds_write_b128 v44, v[46:49]
	ds_write_b128 v44, v[40:43] offset:64
	ds_write_b128 v44, v[92:95] offset:128
.LBB0_5:
	s_or_b32 exec_lo, exec_lo, s4
	v_and_b32_e32 v40, 0xff, v154
	s_waitcnt lgkmcnt(0)
	s_barrier
	buffer_gl0_inv
	s_mov_b32 s0, 0x667f3bcd
	v_mul_lo_u16 v40, 0xab, v40
	s_mov_b32 s1, 0xbfe6a09e
	s_mov_b32 s5, 0x3fe6a09e
	;; [unrolled: 1-line block ×3, first 2 shown]
	v_lshrrev_b16 v75, 11, v40
	v_mul_lo_u16 v40, v75, 12
	v_sub_nc_u16 v40, v154, v40
	v_and_b32_e32 v91, 0xff, v40
	v_mad_u64_u32 v[56:57], null, 0x70, v91, s[14:15]
	s_clause 0x6
	global_load_dwordx4 v[48:51], v[56:57], off offset:128
	global_load_dwordx4 v[44:47], v[56:57], off offset:144
	;; [unrolled: 1-line block ×7, first 2 shown]
	ds_read_b128 v[69:72], v153 offset:2304
	ds_read_b128 v[77:80], v153 offset:4608
	;; [unrolled: 1-line block ×7, first 2 shown]
	ds_read_b128 v[108:111], v153
	s_waitcnt vmcnt(0) lgkmcnt(0)
	s_barrier
	buffer_gl0_inv
	v_mul_f64 v[73:74], v[71:72], v[50:51]
	v_mul_f64 v[89:90], v[69:70], v[50:51]
	v_mul_f64 v[112:113], v[79:80], v[46:47]
	v_mul_f64 v[114:115], v[77:78], v[46:47]
	v_mul_f64 v[116:117], v[83:84], v[42:43]
	v_mul_f64 v[118:119], v[81:82], v[42:43]
	v_mul_f64 v[120:121], v[87:88], v[54:55]
	v_mul_f64 v[122:123], v[85:86], v[54:55]
	v_mul_f64 v[124:125], v[98:99], v[66:67]
	v_mul_f64 v[126:127], v[96:97], v[66:67]
	v_mul_f64 v[130:131], v[102:103], v[62:63]
	v_mul_f64 v[132:133], v[100:101], v[62:63]
	v_mul_f64 v[134:135], v[106:107], v[58:59]
	v_mul_f64 v[136:137], v[104:105], v[58:59]
	v_fma_f64 v[69:70], v[69:70], v[48:49], -v[73:74]
	v_fma_f64 v[71:72], v[71:72], v[48:49], v[89:90]
	v_fma_f64 v[73:74], v[77:78], v[44:45], -v[112:113]
	v_fma_f64 v[77:78], v[79:80], v[44:45], v[114:115]
	;; [unrolled: 2-line block ×7, first 2 shown]
	v_add_f64 v[79:80], v[108:109], -v[79:80]
	v_add_f64 v[81:82], v[110:111], -v[81:82]
	v_add_f64 v[83:84], v[73:74], -v[83:84]
	v_add_f64 v[85:86], v[77:78], -v[85:86]
	v_add_f64 v[87:88], v[69:70], -v[87:88]
	v_add_f64 v[89:90], v[71:72], -v[89:90]
	v_add_f64 v[100:101], v[96:97], -v[100:101]
	v_add_f64 v[102:103], v[98:99], -v[102:103]
	v_fma_f64 v[104:105], v[108:109], 2.0, -v[79:80]
	v_fma_f64 v[106:107], v[110:111], 2.0, -v[81:82]
	;; [unrolled: 1-line block ×6, first 2 shown]
	v_add_f64 v[85:86], v[79:80], -v[85:86]
	v_add_f64 v[112:113], v[81:82], v[83:84]
	v_fma_f64 v[83:84], v[96:97], 2.0, -v[100:101]
	v_fma_f64 v[96:97], v[98:99], 2.0, -v[102:103]
	v_add_f64 v[102:103], v[87:88], -v[102:103]
	v_add_f64 v[100:101], v[89:90], v[100:101]
	v_add_f64 v[73:74], v[104:105], -v[73:74]
	v_add_f64 v[114:115], v[106:107], -v[77:78]
	v_fma_f64 v[116:117], v[79:80], 2.0, -v[85:86]
	v_fma_f64 v[118:119], v[81:82], 2.0, -v[112:113]
	v_add_f64 v[77:78], v[69:70], -v[83:84]
	v_add_f64 v[79:80], v[71:72], -v[96:97]
	v_fma_f64 v[81:82], v[87:88], 2.0, -v[102:103]
	v_fma_f64 v[83:84], v[89:90], 2.0, -v[100:101]
	v_fma_f64 v[87:88], v[102:103], s[4:5], v[85:86]
	v_fma_f64 v[89:90], v[100:101], s[4:5], v[112:113]
	v_fma_f64 v[104:105], v[104:105], 2.0, -v[73:74]
	v_fma_f64 v[106:107], v[106:107], 2.0, -v[114:115]
	;; [unrolled: 1-line block ×4, first 2 shown]
	v_fma_f64 v[120:121], v[81:82], s[0:1], v[116:117]
	v_fma_f64 v[122:123], v[83:84], s[0:1], v[118:119]
	v_add_f64 v[96:97], v[73:74], -v[79:80]
	v_add_f64 v[98:99], v[114:115], v[77:78]
	v_fma_f64 v[108:109], v[100:101], s[0:1], v[87:88]
	v_fma_f64 v[110:111], v[102:103], s[4:5], v[89:90]
	v_add_f64 v[69:70], v[104:105], -v[69:70]
	v_add_f64 v[71:72], v[106:107], -v[71:72]
	v_fma_f64 v[77:78], v[83:84], s[0:1], v[120:121]
	v_fma_f64 v[79:80], v[81:82], s[4:5], v[122:123]
	v_mov_b32_e32 v81, 0x60
	v_fma_f64 v[83:84], v[114:115], 2.0, -v[98:99]
	v_fma_f64 v[85:86], v[85:86], 2.0, -v[108:109]
	;; [unrolled: 1-line block ×3, first 2 shown]
	v_mul_u32_u24_sdwa v75, v75, v81 dst_sel:DWORD dst_unused:UNUSED_PAD src0_sel:WORD_0 src1_sel:DWORD
	v_fma_f64 v[81:82], v[73:74], 2.0, -v[96:97]
	v_or_b32_e32 v73, v75, v91
	v_lshlrev_b32_e32 v160, 4, v73
	v_fma_f64 v[100:101], v[104:105], 2.0, -v[69:70]
	v_fma_f64 v[102:103], v[106:107], 2.0, -v[71:72]
	;; [unrolled: 1-line block ×4, first 2 shown]
	ds_write_b128 v160, v[96:99] offset:1152
	ds_write_b128 v160, v[108:111] offset:1344
	ds_write_b128 v160, v[81:84] offset:384
	ds_write_b128 v160, v[85:88] offset:576
	ds_write_b128 v160, v[69:72] offset:768
	ds_write_b128 v160, v[77:80] offset:960
	ds_write_b128 v160, v[100:103]
	ds_write_b128 v160, v[104:107] offset:192
	s_waitcnt lgkmcnt(0)
	s_barrier
	buffer_gl0_inv
	ds_read_b128 v[104:107], v153
	ds_read_b128 v[100:103], v153 offset:2304
	ds_read_b128 v[120:123], v153 offset:6144
	;; [unrolled: 1-line block ×5, first 2 shown]
	s_and_saveexec_b32 s0, vcc_lo
	s_cbranch_execz .LBB0_7
; %bb.6:
	ds_read_b128 v[96:99], v153 offset:4608
	ds_read_b128 v[108:111], v153 offset:10752
	;; [unrolled: 1-line block ×3, first 2 shown]
.LBB0_7:
	s_or_b32 exec_lo, exec_lo, s0
	v_mov_b32_e32 v69, 0xaaab
	v_add_co_u32 v71, s0, 0xffffffa0, v154
	v_add_co_ci_u32_e64 v72, null, 0, -1, s0
	v_mul_u32_u24_sdwa v70, v76, v69 dst_sel:DWORD dst_unused:UNUSED_PAD src0_sel:WORD_0 src1_sel:DWORD
	v_mul_u32_u24_sdwa v69, v68, v69 dst_sel:DWORD dst_unused:UNUSED_PAD src0_sel:WORD_0 src1_sel:DWORD
	v_cndmask_b32_e32 v146, v71, v154, vcc_lo
	v_cndmask_b32_e64 v147, v72, 0, vcc_lo
	s_mov_b32 s4, 0xe8584caa
	v_lshrrev_b32_e32 v151, 22, v70
	v_lshrrev_b32_e32 v69, 22, v69
	s_mov_b32 s5, 0x3febb67a
	s_mov_b32 s1, 0xbfebb67a
	v_mul_lo_u16 v70, 0x60, v151
	v_mul_lo_u16 v71, 0x60, v69
	v_sub_nc_u16 v171, v76, v70
	v_lshlrev_b64 v[69:70], 5, v[146:147]
	v_sub_nc_u16 v157, v68, v71
	v_lshlrev_b16 v71, 5, v171
	v_add_co_u32 v68, s0, s14, v69
	v_add_co_ci_u32_e64 v69, s0, s15, v70, s0
	v_lshlrev_b16 v70, 5, v157
	v_and_b32_e32 v71, 0xffff, v71
	s_clause 0x1
	global_load_dwordx4 v[76:79], v[68:69], off offset:1488
	global_load_dwordx4 v[80:83], v[68:69], off offset:1472
	v_and_b32_e32 v70, 0xffff, v70
	v_add_co_u32 v68, s0, s14, v71
	v_add_co_ci_u32_e64 v69, null, s15, 0, s0
	v_add_co_u32 v70, s0, s14, v70
	v_add_co_ci_u32_e64 v71, null, s15, 0, s0
	s_clause 0x3
	global_load_dwordx4 v[88:91], v[68:69], off offset:1472
	global_load_dwordx4 v[84:87], v[68:69], off offset:1488
	;; [unrolled: 1-line block ×4, first 2 shown]
	s_mov_b32 s0, s4
	s_waitcnt vmcnt(0) lgkmcnt(0)
	s_barrier
	buffer_gl0_inv
	v_mul_f64 v[134:135], v[126:127], v[78:79]
	v_mul_f64 v[130:131], v[122:123], v[82:83]
	;; [unrolled: 1-line block ×12, first 2 shown]
	v_fma_f64 v[124:125], v[124:125], v[76:77], -v[134:135]
	v_fma_f64 v[120:121], v[120:121], v[80:81], -v[130:131]
	v_fma_f64 v[122:123], v[122:123], v[80:81], v[132:133]
	v_fma_f64 v[126:127], v[126:127], v[76:77], v[136:137]
	v_fma_f64 v[112:113], v[112:113], v[88:89], -v[138:139]
	v_fma_f64 v[114:115], v[114:115], v[88:89], v[140:141]
	v_fma_f64 v[116:117], v[116:117], v[84:85], -v[142:143]
	;; [unrolled: 2-line block ×4, first 2 shown]
	v_fma_f64 v[94:95], v[94:95], v[68:69], v[163:164]
	v_add_f64 v[130:131], v[120:121], v[124:125]
	v_add_f64 v[142:143], v[104:105], v[120:121]
	;; [unrolled: 1-line block ×3, first 2 shown]
	v_add_f64 v[144:145], v[122:123], -v[126:127]
	v_add_f64 v[122:123], v[106:107], v[122:123]
	v_add_f64 v[147:148], v[120:121], -v[124:125]
	v_add_f64 v[149:150], v[100:101], v[112:113]
	v_add_f64 v[161:162], v[102:103], v[114:115]
	;; [unrolled: 1-line block ×4, first 2 shown]
	v_add_f64 v[114:115], v[114:115], -v[118:119]
	v_add_f64 v[112:113], v[112:113], -v[116:117]
	v_add_f64 v[138:139], v[108:109], v[92:93]
	v_add_f64 v[140:141], v[110:111], v[94:95]
	v_fma_f64 v[163:164], v[130:131], -0.5, v[104:105]
	v_add_f64 v[104:105], v[110:111], -v[94:95]
	v_fma_f64 v[165:166], v[132:133], -0.5, v[106:107]
	v_add_f64 v[106:107], v[108:109], -v[92:93]
	v_add_f64 v[120:121], v[142:143], v[124:125]
	v_add_f64 v[122:123], v[122:123], v[126:127]
	;; [unrolled: 1-line block ×4, first 2 shown]
	v_fma_f64 v[167:168], v[134:135], -0.5, v[100:101]
	v_fma_f64 v[169:170], v[136:137], -0.5, v[102:103]
	;; [unrolled: 1-line block ×4, first 2 shown]
	v_fma_f64 v[130:131], v[144:145], s[4:5], v[163:164]
	v_fma_f64 v[134:135], v[144:145], s[0:1], v[163:164]
	;; [unrolled: 1-line block ×10, first 2 shown]
	v_cmp_lt_u16_e64 s0, 0x5f, v154
	v_mov_b32_e32 v112, 4
	v_mad_u16 v114, 0x120, v151, v171
	v_cndmask_b32_e64 v113, 0, 0x120, s0
	v_lshlrev_b32_sdwa v161, v112, v114 dst_sel:DWORD dst_unused:UNUSED_PAD src0_sel:DWORD src1_sel:WORD_0
	v_add_lshl_u32 v162, v146, v113, 4
	ds_write_b128 v162, v[120:123]
	ds_write_b128 v162, v[130:133] offset:1536
	ds_write_b128 v162, v[134:137] offset:3072
	ds_write_b128 v161, v[124:127]
	ds_write_b128 v161, v[138:141] offset:1536
	ds_write_b128 v161, v[142:145] offset:3072
	s_and_saveexec_b32 s0, vcc_lo
	s_cbranch_execz .LBB0_9
; %bb.8:
	v_mul_f64 v[106:107], v[106:107], s[4:5]
	v_add_f64 v[98:99], v[98:99], v[110:111]
	v_add_f64 v[108:109], v[96:97], v[108:109]
	v_mul_f64 v[110:111], v[104:105], s[4:5]
	v_add_f64 v[96:97], v[102:103], -v[106:107]
	v_add_f64 v[104:105], v[98:99], v[94:95]
	v_add_f64 v[102:103], v[108:109], v[92:93]
	;; [unrolled: 1-line block ×3, first 2 shown]
	v_lshlrev_b32_sdwa v92, v112, v157 dst_sel:DWORD dst_unused:UNUSED_PAD src0_sel:DWORD src1_sel:WORD_0
	ds_write_b128 v92, v[102:105] offset:13824
	ds_write_b128 v92, v[94:97] offset:15360
	;; [unrolled: 1-line block ×3, first 2 shown]
.LBB0_9:
	s_or_b32 exec_lo, exec_lo, s0
	v_mad_u64_u32 v[100:101], null, v154, 48, s[14:15]
	s_waitcnt lgkmcnt(0)
	s_barrier
	buffer_gl0_inv
	v_add_co_u32 v92, s0, 0x1000, v100
	v_add_co_ci_u32_e64 v93, s0, 0, v101, s0
	v_add_co_u32 v102, s0, 0x11c0, v100
	v_add_co_ci_u32_e64 v103, s0, 0, v101, s0
	;; [unrolled: 2-line block ×4, first 2 shown]
	s_clause 0x5
	global_load_dwordx4 v[92:95], v[92:93], off offset:448
	global_load_dwordx4 v[96:99], v[102:103], off offset:16
	;; [unrolled: 1-line block ×6, first 2 shown]
	ds_read_b128 v[120:123], v153 offset:4608
	ds_read_b128 v[124:127], v153 offset:9216
	;; [unrolled: 1-line block ×6, first 2 shown]
	ds_read_b128 v[146:149], v153
	ds_read_b128 v[163:166], v153 offset:2304
	s_waitcnt vmcnt(3) lgkmcnt(5)
	v_mul_f64 v[173:174], v[132:133], v[102:103]
	v_mul_f64 v[150:151], v[122:123], v[94:95]
	;; [unrolled: 1-line block ×6, first 2 shown]
	s_waitcnt vmcnt(2) lgkmcnt(4)
	v_mul_f64 v[177:178], v[136:137], v[106:107]
	v_mul_f64 v[179:180], v[134:135], v[106:107]
	s_waitcnt vmcnt(1) lgkmcnt(3)
	v_mul_f64 v[181:182], v[140:141], v[114:115]
	v_mul_f64 v[183:184], v[138:139], v[114:115]
	;; [unrolled: 3-line block ×3, first 2 shown]
	v_fma_f64 v[130:131], v[130:131], v[100:101], -v[173:174]
	v_fma_f64 v[120:121], v[120:121], v[92:93], -v[150:151]
	v_fma_f64 v[122:123], v[122:123], v[92:93], v[167:168]
	v_fma_f64 v[124:125], v[124:125], v[96:97], -v[169:170]
	v_fma_f64 v[126:127], v[126:127], v[96:97], v[171:172]
	v_fma_f64 v[132:133], v[132:133], v[100:101], v[175:176]
	v_fma_f64 v[134:135], v[134:135], v[104:105], -v[177:178]
	v_fma_f64 v[136:137], v[136:137], v[104:105], v[179:180]
	v_fma_f64 v[138:139], v[138:139], v[112:113], -v[181:182]
	v_fma_f64 v[140:141], v[140:141], v[112:113], v[183:184]
	v_fma_f64 v[142:143], v[142:143], v[108:109], -v[185:186]
	v_fma_f64 v[144:145], v[144:145], v[108:109], v[187:188]
	s_waitcnt lgkmcnt(1)
	v_add_f64 v[150:151], v[146:147], -v[124:125]
	v_add_f64 v[167:168], v[148:149], -v[126:127]
	;; [unrolled: 1-line block ×4, first 2 shown]
	s_waitcnt lgkmcnt(0)
	v_add_f64 v[169:170], v[163:164], -v[138:139]
	v_add_f64 v[171:172], v[165:166], -v[140:141]
	;; [unrolled: 1-line block ×4, first 2 shown]
	v_lshlrev_b32_e32 v142, 4, v154
	v_add_co_u32 v177, s0, s12, v142
	v_add_co_ci_u32_e64 v178, null, s13, 0, s0
	v_add_co_u32 v173, s0, 0x4800, v177
	v_add_co_ci_u32_e64 v174, s0, 0, v178, s0
	v_fma_f64 v[146:147], v[146:147], 2.0, -v[150:151]
	v_fma_f64 v[148:149], v[148:149], 2.0, -v[167:168]
	;; [unrolled: 1-line block ×8, first 2 shown]
	v_add_f64 v[120:121], v[150:151], -v[126:127]
	v_add_f64 v[122:123], v[167:168], v[124:125]
	v_add_f64 v[124:125], v[169:170], -v[132:133]
	v_add_f64 v[126:127], v[171:172], v[130:131]
	v_add_co_u32 v175, s0, 0x5800, v177
	v_add_co_ci_u32_e64 v176, s0, 0, v178, s0
	v_add_f64 v[130:131], v[146:147], -v[138:139]
	v_add_f64 v[132:133], v[148:149], -v[140:141]
	;; [unrolled: 1-line block ×4, first 2 shown]
	v_fma_f64 v[138:139], v[150:151], 2.0, -v[120:121]
	v_fma_f64 v[140:141], v[167:168], 2.0, -v[122:123]
	;; [unrolled: 1-line block ×4, first 2 shown]
	v_add_co_u32 v150, s0, 0x6800, v177
	v_add_co_ci_u32_e64 v151, s0, 0, v178, s0
	v_add_co_u32 v167, s0, 0x7800, v177
	v_add_co_ci_u32_e64 v168, s0, 0, v178, s0
	;; [unrolled: 2-line block ×3, first 2 shown]
	v_fma_f64 v[146:147], v[146:147], 2.0, -v[130:131]
	v_fma_f64 v[148:149], v[148:149], 2.0, -v[132:133]
	v_add_co_u32 v171, s0, 0x6000, v177
	v_fma_f64 v[163:164], v[163:164], 2.0, -v[134:135]
	v_fma_f64 v[165:166], v[165:166], 2.0, -v[136:137]
	v_add_co_ci_u32_e64 v172, s0, 0, v178, s0
	ds_write_b128 v153, v[120:123] offset:13824
	ds_write_b128 v153, v[124:127] offset:16128
	ds_write_b128 v153, v[138:141] offset:4608
	ds_write_b128 v153, v[130:133] offset:9216
	ds_write_b128 v153, v[142:145] offset:6912
	ds_write_b128 v153, v[134:137] offset:11520
	ds_write_b128 v153, v[146:149]
	ds_write_b128 v153, v[163:166] offset:2304
	v_add_co_u32 v146, s0, 0x7000, v177
	s_waitcnt lgkmcnt(0)
	s_barrier
	buffer_gl0_inv
	global_load_dwordx4 v[120:123], v[173:174], off
	v_add_co_ci_u32_e64 v147, s0, 0, v178, s0
	s_clause 0x3
	global_load_dwordx4 v[124:127], v[175:176], off offset:512
	global_load_dwordx4 v[130:133], v[150:151], off offset:1024
	;; [unrolled: 1-line block ×4, first 2 shown]
	v_add_co_u32 v150, s0, 0x8000, v177
	v_add_co_ci_u32_e64 v151, s0, 0, v178, s0
	s_clause 0x2
	global_load_dwordx4 v[142:145], v[171:172], off offset:768
	global_load_dwordx4 v[146:149], v[146:147], off offset:1280
	;; [unrolled: 1-line block ×3, first 2 shown]
	ds_read_b128 v[167:170], v153
	ds_read_b128 v[171:174], v153 offset:4608
	ds_read_b128 v[175:178], v153 offset:9216
	;; [unrolled: 1-line block ×7, first 2 shown]
	s_waitcnt vmcnt(6) lgkmcnt(6)
	v_mul_f64 v[199:200], v[173:174], v[126:127]
	v_mul_f64 v[150:151], v[169:170], v[122:123]
	;; [unrolled: 1-line block ×4, first 2 shown]
	s_waitcnt vmcnt(5) lgkmcnt(5)
	v_mul_f64 v[201:202], v[177:178], v[132:133]
	v_mul_f64 v[132:133], v[175:176], v[132:133]
	s_waitcnt vmcnt(4) lgkmcnt(4)
	v_mul_f64 v[203:204], v[181:182], v[136:137]
	v_mul_f64 v[136:137], v[179:180], v[136:137]
	s_waitcnt vmcnt(3) lgkmcnt(3)
	v_mul_f64 v[205:206], v[185:186], v[140:141]
	v_mul_f64 v[140:141], v[183:184], v[140:141]
	s_waitcnt vmcnt(2) lgkmcnt(2)
	v_mul_f64 v[207:208], v[189:190], v[144:145]
	v_mul_f64 v[144:145], v[187:188], v[144:145]
	s_waitcnt vmcnt(1) lgkmcnt(1)
	v_mul_f64 v[209:210], v[193:194], v[148:149]
	v_mul_f64 v[211:212], v[191:192], v[148:149]
	s_waitcnt vmcnt(0) lgkmcnt(0)
	v_mul_f64 v[213:214], v[197:198], v[165:166]
	v_mul_f64 v[215:216], v[195:196], v[165:166]
	v_fma_f64 v[148:149], v[167:168], v[120:121], -v[150:151]
	v_fma_f64 v[150:151], v[169:170], v[120:121], v[122:123]
	v_fma_f64 v[120:121], v[171:172], v[124:125], -v[199:200]
	v_fma_f64 v[122:123], v[173:174], v[124:125], v[126:127]
	;; [unrolled: 2-line block ×8, first 2 shown]
	ds_write_b128 v153, v[148:151]
	ds_write_b128 v153, v[120:123] offset:4608
	ds_write_b128 v153, v[124:127] offset:9216
	;; [unrolled: 1-line block ×7, first 2 shown]
	s_waitcnt lgkmcnt(0)
	s_barrier
	buffer_gl0_inv
	ds_read_b128 v[120:123], v153 offset:9216
	ds_read_b128 v[124:127], v153
	ds_read_b128 v[130:133], v153 offset:4608
	ds_read_b128 v[134:137], v153 offset:13824
	;; [unrolled: 1-line block ×6, first 2 shown]
	s_waitcnt lgkmcnt(0)
	s_barrier
	buffer_gl0_inv
	v_add_f64 v[150:151], v[124:125], -v[120:121]
	v_add_f64 v[167:168], v[126:127], -v[122:123]
	;; [unrolled: 1-line block ×8, first 2 shown]
	v_fma_f64 v[163:164], v[124:125], 2.0, -v[150:151]
	v_fma_f64 v[165:166], v[126:127], 2.0, -v[167:168]
	;; [unrolled: 1-line block ×8, first 2 shown]
	v_add_f64 v[124:125], v[150:151], v[122:123]
	v_add_f64 v[126:127], v[167:168], -v[120:121]
	v_add_f64 v[132:133], v[169:170], v[136:137]
	v_add_f64 v[134:135], v[171:172], -v[134:135]
	v_add_f64 v[136:137], v[163:164], -v[130:131]
	;; [unrolled: 1-line block ×5, first 2 shown]
	v_fma_f64 v[140:141], v[150:151], 2.0, -v[124:125]
	v_fma_f64 v[142:143], v[167:168], 2.0, -v[126:127]
	;; [unrolled: 1-line block ×8, first 2 shown]
	ds_write_b128 v128, v[124:127] offset:48
	ds_write_b128 v129, v[132:135] offset:48
	;; [unrolled: 1-line block ×6, first 2 shown]
	ds_write_b128 v128, v[148:151]
	ds_write_b128 v129, v[163:166]
	s_waitcnt lgkmcnt(0)
	s_barrier
	buffer_gl0_inv
	ds_read_b128 v[128:131], v153
	ds_read_b128 v[124:127], v153 offset:2304
	ds_read_b128 v[144:147], v153 offset:6144
	;; [unrolled: 1-line block ×5, first 2 shown]
	s_and_saveexec_b32 s0, vcc_lo
	s_cbranch_execz .LBB0_11
; %bb.10:
	ds_read_b128 v[120:123], v153 offset:4608
	ds_read_b128 v[132:135], v153 offset:10752
	;; [unrolled: 1-line block ×3, first 2 shown]
.LBB0_11:
	s_or_b32 exec_lo, exec_lo, s0
	s_waitcnt lgkmcnt(3)
	v_mul_f64 v[163:164], v[38:39], v[146:147]
	v_mul_f64 v[165:166], v[38:39], v[144:145]
	s_waitcnt lgkmcnt(1)
	v_mul_f64 v[167:168], v[34:35], v[150:151]
	v_mul_f64 v[169:170], v[34:35], v[148:149]
	;; [unrolled: 1-line block ×4, first 2 shown]
	s_waitcnt lgkmcnt(0)
	v_mul_f64 v[175:176], v[34:35], v[142:143]
	v_mul_f64 v[177:178], v[34:35], v[140:141]
	;; [unrolled: 1-line block ×6, first 2 shown]
	s_mov_b32 s4, 0xe8584caa
	s_mov_b32 s5, 0xbfebb67a
	;; [unrolled: 1-line block ×4, first 2 shown]
	s_barrier
	buffer_gl0_inv
	v_fma_f64 v[144:145], v[36:37], v[144:145], v[163:164]
	v_fma_f64 v[146:147], v[36:37], v[146:147], -v[165:166]
	v_fma_f64 v[148:149], v[32:33], v[148:149], v[167:168]
	v_fma_f64 v[150:151], v[32:33], v[150:151], -v[169:170]
	v_fma_f64 v[136:137], v[36:37], v[136:137], v[171:172]
	v_fma_f64 v[138:139], v[36:37], v[138:139], -v[173:174]
	v_fma_f64 v[140:141], v[32:33], v[140:141], v[175:176]
	v_fma_f64 v[142:143], v[32:33], v[142:143], -v[177:178]
	v_fma_f64 v[38:39], v[36:37], v[132:133], v[179:180]
	v_fma_f64 v[132:133], v[36:37], v[134:135], -v[181:182]
	v_fma_f64 v[36:37], v[32:33], v[116:117], v[183:184]
	v_fma_f64 v[116:117], v[32:33], v[118:119], -v[34:35]
	v_add_f64 v[167:168], v[128:129], v[144:145]
	v_add_f64 v[32:33], v[144:145], v[148:149]
	;; [unrolled: 1-line block ×3, first 2 shown]
	v_add_f64 v[169:170], v[146:147], -v[150:151]
	v_add_f64 v[146:147], v[130:131], v[146:147]
	v_add_f64 v[118:119], v[136:137], v[140:141]
	;; [unrolled: 1-line block ×3, first 2 shown]
	v_add_f64 v[171:172], v[144:145], -v[148:149]
	v_add_f64 v[144:145], v[124:125], v[136:137]
	v_add_f64 v[163:164], v[38:39], v[36:37]
	;; [unrolled: 1-line block ×4, first 2 shown]
	v_add_f64 v[175:176], v[138:139], -v[142:143]
	v_fma_f64 v[32:33], v[32:33], -0.5, v[128:129]
	v_fma_f64 v[34:35], v[34:35], -0.5, v[130:131]
	v_add_f64 v[128:129], v[38:39], -v[36:37]
	v_add_f64 v[130:131], v[136:137], -v[140:141]
	v_fma_f64 v[177:178], v[118:119], -0.5, v[124:125]
	v_add_f64 v[124:125], v[132:133], -v[116:117]
	v_fma_f64 v[179:180], v[134:135], -0.5, v[126:127]
	v_add_f64 v[134:135], v[167:168], v[148:149]
	v_fma_f64 v[118:119], v[163:164], -0.5, v[120:121]
	v_fma_f64 v[126:127], v[165:166], -0.5, v[122:123]
	v_add_f64 v[136:137], v[146:147], v[150:151]
	v_add_f64 v[138:139], v[144:145], v[140:141]
	;; [unrolled: 1-line block ×3, first 2 shown]
	v_fma_f64 v[142:143], v[169:170], s[4:5], v[32:33]
	v_fma_f64 v[146:147], v[169:170], s[0:1], v[32:33]
	;; [unrolled: 1-line block ×10, first 2 shown]
	ds_write_b128 v159, v[134:137]
	ds_write_b128 v159, v[142:145] offset:64
	ds_write_b128 v159, v[146:149] offset:128
	ds_write_b128 v158, v[138:141]
	ds_write_b128 v158, v[163:166] offset:64
	ds_write_b128 v158, v[167:170] offset:128
	s_and_saveexec_b32 s4, vcc_lo
	s_cbranch_execz .LBB0_13
; %bb.12:
	v_add_f64 v[122:123], v[132:133], v[122:123]
	v_add_f64 v[120:121], v[38:39], v[120:121]
	v_mul_f64 v[128:129], v[128:129], s[0:1]
	v_mul_f64 v[124:125], v[124:125], s[0:1]
	v_add_f64 v[122:123], v[116:117], v[122:123]
	v_add_f64 v[120:121], v[120:121], v[36:37]
	v_add_f64 v[38:39], v[128:129], v[126:127]
	v_add_f64 v[36:37], v[118:119], -v[124:125]
	v_mul_u32_u24_e32 v116, 12, v156
	v_or_b32_e32 v116, v116, v155
	v_lshlrev_b32_e32 v116, 4, v116
	ds_write_b128 v116, v[120:123]
	ds_write_b128 v116, v[36:39] offset:64
	ds_write_b128 v116, v[32:35] offset:128
.LBB0_13:
	s_or_b32 exec_lo, exec_lo, s4
	s_waitcnt lgkmcnt(0)
	s_barrier
	buffer_gl0_inv
	ds_read_b128 v[36:39], v153 offset:2304
	ds_read_b128 v[116:119], v153 offset:4608
	;; [unrolled: 1-line block ×7, first 2 shown]
	ds_read_b128 v[140:143], v153
	s_mov_b32 s0, 0x667f3bcd
	s_mov_b32 s1, 0xbfe6a09e
	;; [unrolled: 1-line block ×4, first 2 shown]
	s_waitcnt lgkmcnt(0)
	s_barrier
	buffer_gl0_inv
	v_mul_f64 v[144:145], v[50:51], v[38:39]
	v_mul_f64 v[50:51], v[50:51], v[36:37]
	;; [unrolled: 1-line block ×14, first 2 shown]
	v_fma_f64 v[36:37], v[48:49], v[36:37], v[144:145]
	v_fma_f64 v[38:39], v[48:49], v[38:39], -v[50:51]
	v_fma_f64 v[48:49], v[44:45], v[116:117], v[146:147]
	v_fma_f64 v[44:45], v[44:45], v[118:119], -v[46:47]
	;; [unrolled: 2-line block ×7, first 2 shown]
	v_add_f64 v[46:47], v[140:141], -v[46:47]
	v_add_f64 v[40:41], v[142:143], -v[40:41]
	;; [unrolled: 1-line block ×8, first 2 shown]
	v_fma_f64 v[62:63], v[140:141], 2.0, -v[46:47]
	v_fma_f64 v[66:67], v[142:143], 2.0, -v[40:41]
	;; [unrolled: 1-line block ×6, first 2 shown]
	v_add_f64 v[116:117], v[46:47], v[50:51]
	v_add_f64 v[118:119], v[40:41], -v[42:43]
	v_fma_f64 v[42:43], v[64:65], 2.0, -v[58:59]
	v_fma_f64 v[50:51], v[60:61], 2.0, -v[56:57]
	v_add_f64 v[56:57], v[52:53], v[56:57]
	v_add_f64 v[58:59], v[54:55], -v[58:59]
	v_add_f64 v[60:61], v[62:63], -v[48:49]
	;; [unrolled: 1-line block ×3, first 2 shown]
	v_fma_f64 v[120:121], v[46:47], 2.0, -v[116:117]
	v_fma_f64 v[122:123], v[40:41], 2.0, -v[118:119]
	v_add_f64 v[40:41], v[36:37], -v[42:43]
	v_add_f64 v[42:43], v[38:39], -v[50:51]
	v_fma_f64 v[50:51], v[52:53], 2.0, -v[56:57]
	v_fma_f64 v[48:49], v[54:55], 2.0, -v[58:59]
	v_fma_f64 v[44:45], v[56:57], s[4:5], v[116:117]
	v_fma_f64 v[46:47], v[58:59], s[4:5], v[118:119]
	v_fma_f64 v[62:63], v[62:63], 2.0, -v[60:61]
	v_fma_f64 v[66:67], v[66:67], 2.0, -v[64:65]
	;; [unrolled: 1-line block ×4, first 2 shown]
	v_fma_f64 v[124:125], v[50:51], s[0:1], v[120:121]
	v_fma_f64 v[126:127], v[48:49], s[0:1], v[122:123]
	v_add_f64 v[36:37], v[60:61], v[42:43]
	v_add_f64 v[38:39], v[64:65], -v[40:41]
	v_fma_f64 v[40:41], v[58:59], s[4:5], v[44:45]
	v_fma_f64 v[42:43], v[56:57], s[0:1], v[46:47]
	v_add_f64 v[44:45], v[62:63], -v[52:53]
	v_add_f64 v[46:47], v[66:67], -v[54:55]
	v_fma_f64 v[48:49], v[48:49], s[4:5], v[124:125]
	v_fma_f64 v[50:51], v[50:51], s[0:1], v[126:127]
	v_fma_f64 v[52:53], v[60:61], 2.0, -v[36:37]
	v_fma_f64 v[54:55], v[64:65], 2.0, -v[38:39]
	;; [unrolled: 1-line block ×8, first 2 shown]
	ds_write_b128 v160, v[36:39] offset:1152
	ds_write_b128 v160, v[40:43] offset:1344
	;; [unrolled: 1-line block ×6, first 2 shown]
	ds_write_b128 v160, v[60:63]
	ds_write_b128 v160, v[64:67] offset:192
	s_waitcnt lgkmcnt(0)
	s_barrier
	buffer_gl0_inv
	ds_read_b128 v[48:51], v153
	ds_read_b128 v[44:47], v153 offset:2304
	ds_read_b128 v[60:63], v153 offset:6144
	;; [unrolled: 1-line block ×5, first 2 shown]
	s_and_saveexec_b32 s0, vcc_lo
	s_cbranch_execz .LBB0_15
; %bb.14:
	ds_read_b128 v[36:39], v153 offset:4608
	ds_read_b128 v[40:43], v153 offset:10752
	;; [unrolled: 1-line block ×3, first 2 shown]
.LBB0_15:
	s_or_b32 exec_lo, exec_lo, s0
	s_waitcnt lgkmcnt(3)
	v_mul_f64 v[116:117], v[82:83], v[62:63]
	s_waitcnt lgkmcnt(1)
	v_mul_f64 v[118:119], v[78:79], v[66:67]
	v_mul_f64 v[82:83], v[82:83], v[60:61]
	;; [unrolled: 1-line block ×4, first 2 shown]
	s_waitcnt lgkmcnt(0)
	v_mul_f64 v[122:123], v[86:87], v[58:59]
	v_mul_f64 v[90:91], v[90:91], v[52:53]
	;; [unrolled: 1-line block ×3, first 2 shown]
	s_mov_b32 s0, 0xe8584caa
	s_mov_b32 s1, 0xbfebb67a
	;; [unrolled: 1-line block ×4, first 2 shown]
	s_barrier
	buffer_gl0_inv
	v_fma_f64 v[60:61], v[80:81], v[60:61], v[116:117]
	v_fma_f64 v[64:65], v[76:77], v[64:65], v[118:119]
	v_fma_f64 v[62:63], v[80:81], v[62:63], -v[82:83]
	v_fma_f64 v[66:67], v[76:77], v[66:67], -v[78:79]
	v_fma_f64 v[52:53], v[88:89], v[52:53], v[120:121]
	v_fma_f64 v[56:57], v[84:85], v[56:57], v[122:123]
	v_fma_f64 v[54:55], v[88:89], v[54:55], -v[90:91]
	v_fma_f64 v[58:59], v[84:85], v[58:59], -v[86:87]
	v_add_f64 v[84:85], v[48:49], v[60:61]
	v_add_f64 v[76:77], v[60:61], v[64:65]
	v_add_f64 v[60:61], v[60:61], -v[64:65]
	v_add_f64 v[78:79], v[62:63], v[66:67]
	v_add_f64 v[86:87], v[62:63], -v[66:67]
	v_add_f64 v[80:81], v[52:53], v[56:57]
	v_add_f64 v[62:63], v[50:51], v[62:63]
	;; [unrolled: 1-line block ×5, first 2 shown]
	v_add_f64 v[116:117], v[54:55], -v[58:59]
	v_add_f64 v[118:119], v[52:53], -v[56:57]
	v_fma_f64 v[76:77], v[76:77], -0.5, v[48:49]
	v_fma_f64 v[78:79], v[78:79], -0.5, v[50:51]
	;; [unrolled: 1-line block ×3, first 2 shown]
	v_add_f64 v[44:45], v[84:85], v[64:65]
	v_fma_f64 v[82:83], v[82:83], -0.5, v[46:47]
	v_add_f64 v[46:47], v[62:63], v[66:67]
	v_add_f64 v[48:49], v[88:89], v[56:57]
	;; [unrolled: 1-line block ×3, first 2 shown]
	v_fma_f64 v[52:53], v[86:87], s[0:1], v[76:77]
	v_fma_f64 v[56:57], v[86:87], s[4:5], v[76:77]
	;; [unrolled: 1-line block ×8, first 2 shown]
	ds_write_b128 v162, v[44:47]
	ds_write_b128 v162, v[52:55] offset:1536
	ds_write_b128 v162, v[56:59] offset:3072
	ds_write_b128 v161, v[48:51]
	ds_write_b128 v161, v[60:63] offset:1536
	ds_write_b128 v161, v[64:67] offset:3072
	s_and_saveexec_b32 s6, vcc_lo
	s_cbranch_execz .LBB0_17
; %bb.16:
	v_mul_f64 v[44:45], v[74:75], v[40:41]
	v_mul_f64 v[46:47], v[70:71], v[32:33]
	v_mul_f64 v[48:49], v[74:75], v[42:43]
	v_mul_f64 v[50:51], v[70:71], v[34:35]
	v_fma_f64 v[42:43], v[72:73], v[42:43], -v[44:45]
	v_fma_f64 v[34:35], v[68:69], v[34:35], -v[46:47]
	v_fma_f64 v[40:41], v[72:73], v[40:41], v[48:49]
	v_fma_f64 v[32:33], v[68:69], v[32:33], v[50:51]
	v_add_f64 v[50:51], v[42:43], v[38:39]
	v_add_f64 v[44:45], v[42:43], v[34:35]
	v_add_f64 v[52:53], v[42:43], -v[34:35]
	v_add_f64 v[46:47], v[40:41], v[32:33]
	v_add_f64 v[48:49], v[40:41], -v[32:33]
	v_add_f64 v[40:41], v[40:41], v[36:37]
	v_add_f64 v[34:35], v[34:35], v[50:51]
	v_fma_f64 v[44:45], v[44:45], -0.5, v[38:39]
	v_fma_f64 v[36:37], v[46:47], -0.5, v[36:37]
	v_add_f64 v[32:33], v[40:41], v[32:33]
	v_fma_f64 v[42:43], v[48:49], s[4:5], v[44:45]
	v_fma_f64 v[38:39], v[48:49], s[0:1], v[44:45]
	;; [unrolled: 1-line block ×4, first 2 shown]
	v_mov_b32_e32 v44, 4
	v_lshlrev_b32_sdwa v44, v44, v157 dst_sel:DWORD dst_unused:UNUSED_PAD src0_sel:DWORD src1_sel:WORD_0
	ds_write_b128 v44, v[32:35] offset:13824
	ds_write_b128 v44, v[40:43] offset:15360
	;; [unrolled: 1-line block ×3, first 2 shown]
.LBB0_17:
	s_or_b32 exec_lo, exec_lo, s6
	s_waitcnt lgkmcnt(0)
	s_barrier
	buffer_gl0_inv
	ds_read_b128 v[32:35], v153 offset:4608
	ds_read_b128 v[36:39], v153 offset:9216
	;; [unrolled: 1-line block ×6, first 2 shown]
	ds_read_b128 v[56:59], v153
	ds_read_b128 v[60:63], v153 offset:2304
	s_mul_i32 s0, s9, 0x1200
	s_mul_hi_u32 s4, s8, 0x1200
	s_mul_i32 s1, s8, 0x1200
	s_add_i32 s0, s4, s0
	s_waitcnt lgkmcnt(7)
	v_mul_f64 v[64:65], v[94:95], v[34:35]
	v_mul_f64 v[66:67], v[94:95], v[32:33]
	s_waitcnt lgkmcnt(6)
	v_mul_f64 v[68:69], v[98:99], v[38:39]
	v_mul_f64 v[70:71], v[98:99], v[36:37]
	;; [unrolled: 3-line block ×6, first 2 shown]
	v_fma_f64 v[32:33], v[92:93], v[32:33], v[64:65]
	v_fma_f64 v[34:35], v[92:93], v[34:35], -v[66:67]
	v_fma_f64 v[36:37], v[96:97], v[36:37], v[68:69]
	v_fma_f64 v[38:39], v[96:97], v[38:39], -v[70:71]
	v_fma_f64 v[40:41], v[100:101], v[40:41], v[72:73]
	v_fma_f64 v[42:43], v[100:101], v[42:43], -v[74:75]
	v_fma_f64 v[44:45], v[104:105], v[44:45], v[76:77]
	v_fma_f64 v[46:47], v[104:105], v[46:47], -v[78:79]
	v_fma_f64 v[48:49], v[112:113], v[48:49], v[80:81]
	v_fma_f64 v[50:51], v[112:113], v[50:51], -v[82:83]
	v_fma_f64 v[52:53], v[108:109], v[52:53], v[84:85]
	v_fma_f64 v[54:55], v[108:109], v[54:55], -v[86:87]
	v_mad_u64_u32 v[72:73], null, s10, v152, 0
	v_mad_u64_u32 v[74:75], null, s8, v154, 0
	s_waitcnt lgkmcnt(1)
	v_add_f64 v[64:65], v[56:57], -v[36:37]
	v_add_f64 v[66:67], v[58:59], -v[38:39]
	;; [unrolled: 1-line block ×4, first 2 shown]
	s_waitcnt lgkmcnt(0)
	v_add_f64 v[68:69], v[60:61], -v[48:49]
	v_add_f64 v[70:71], v[62:63], -v[50:51]
	;; [unrolled: 1-line block ×4, first 2 shown]
	v_fma_f64 v[56:57], v[56:57], 2.0, -v[64:65]
	v_fma_f64 v[58:59], v[58:59], 2.0, -v[66:67]
	;; [unrolled: 1-line block ×4, first 2 shown]
	v_add_f64 v[32:33], v[64:65], v[38:39]
	v_add_f64 v[34:35], v[66:67], -v[36:37]
	v_fma_f64 v[60:61], v[60:61], 2.0, -v[68:69]
	v_fma_f64 v[62:63], v[62:63], 2.0, -v[70:71]
	;; [unrolled: 1-line block ×4, first 2 shown]
	v_add_f64 v[36:37], v[68:69], v[42:43]
	v_add_f64 v[38:39], v[70:71], -v[40:41]
	v_add_f64 v[40:41], v[56:57], -v[48:49]
	;; [unrolled: 1-line block ×3, first 2 shown]
	v_mov_b32_e32 v48, v73
	v_mov_b32_e32 v49, v75
	v_add_f64 v[44:45], v[60:61], -v[44:45]
	v_add_f64 v[46:47], v[62:63], -v[46:47]
	v_mad_u64_u32 v[75:76], null, s11, v152, v[48:49]
	v_mad_u64_u32 v[76:77], null, s9, v154, v[49:50]
	v_fma_f64 v[48:49], v[64:65], 2.0, -v[32:33]
	v_fma_f64 v[50:51], v[66:67], 2.0, -v[34:35]
	;; [unrolled: 1-line block ×4, first 2 shown]
	v_mov_b32_e32 v73, v75
	v_mov_b32_e32 v75, v76
	v_lshlrev_b64 v[64:65], 4, v[72:73]
	v_fma_f64 v[56:57], v[56:57], 2.0, -v[40:41]
	v_fma_f64 v[58:59], v[58:59], 2.0, -v[42:43]
	v_lshlrev_b64 v[66:67], 4, v[74:75]
	v_add_co_u32 v64, vcc_lo, s2, v64
	v_fma_f64 v[60:61], v[60:61], 2.0, -v[44:45]
	v_fma_f64 v[62:63], v[62:63], 2.0, -v[46:47]
	v_add_co_ci_u32_e32 v65, vcc_lo, s3, v65, vcc_lo
	v_add_co_u32 v64, vcc_lo, v64, v66
	ds_write_b128 v153, v[32:35] offset:13824
	ds_write_b128 v153, v[36:39] offset:16128
	;; [unrolled: 1-line block ×6, first 2 shown]
	ds_write_b128 v153, v[56:59]
	ds_write_b128 v153, v[60:63] offset:2304
	s_waitcnt lgkmcnt(0)
	s_barrier
	buffer_gl0_inv
	ds_read_b128 v[32:35], v153
	ds_read_b128 v[36:39], v153 offset:4608
	ds_read_b128 v[40:43], v153 offset:9216
	;; [unrolled: 1-line block ×7, first 2 shown]
	v_add_co_ci_u32_e32 v65, vcc_lo, v65, v67, vcc_lo
	v_add_co_u32 v66, vcc_lo, v64, s1
	s_mul_i32 s2, s9, 0xffffd300
	v_add_co_ci_u32_e32 v67, vcc_lo, s0, v65, vcc_lo
	v_add_co_u32 v68, vcc_lo, v66, s1
	s_sub_i32 s4, s2, s8
	v_add_co_ci_u32_e32 v69, vcc_lo, s0, v67, vcc_lo
	v_add_co_u32 v86, vcc_lo, v68, s1
	s_mov_b32 s2, 0x1c71c71c
	s_waitcnt lgkmcnt(7)
	v_mul_f64 v[70:71], v[2:3], v[34:35]
	v_mul_f64 v[2:3], v[2:3], v[32:33]
	s_waitcnt lgkmcnt(6)
	v_mul_f64 v[72:73], v[22:23], v[38:39]
	v_mul_f64 v[22:23], v[22:23], v[36:37]
	;; [unrolled: 3-line block ×8, first 2 shown]
	v_add_co_ci_u32_e32 v87, vcc_lo, s0, v69, vcc_lo
	s_mov_b32 s3, 0x3f4c71c7
	v_mad_u64_u32 v[88:89], null, 0xffffd300, s8, v[86:87]
	v_fma_f64 v[32:33], v[0:1], v[32:33], v[70:71]
	v_fma_f64 v[2:3], v[0:1], v[34:35], -v[2:3]
	v_fma_f64 v[34:35], v[20:21], v[36:37], v[72:73]
	v_fma_f64 v[20:21], v[20:21], v[38:39], -v[22:23]
	;; [unrolled: 2-line block ×8, first 2 shown]
	v_add_nc_u32_e32 v89, s4, v89
	v_mul_f64 v[0:1], v[32:33], s[2:3]
	v_mul_f64 v[2:3], v[2:3], s[2:3]
	;; [unrolled: 1-line block ×16, first 2 shown]
	v_add_co_u32 v32, vcc_lo, v88, s1
	v_add_co_ci_u32_e32 v33, vcc_lo, s0, v89, vcc_lo
	v_add_co_u32 v34, vcc_lo, v32, s1
	v_add_co_ci_u32_e32 v35, vcc_lo, s0, v33, vcc_lo
	;; [unrolled: 2-line block ×3, first 2 shown]
	global_store_dwordx4 v[64:65], v[0:3], off
	global_store_dwordx4 v[66:67], v[4:7], off
	;; [unrolled: 1-line block ×8, first 2 shown]
.LBB0_18:
	s_endpgm
	.section	.rodata,"a",@progbits
	.p2align	6, 0x0
	.amdhsa_kernel bluestein_single_back_len1152_dim1_dp_op_CI_CI
		.amdhsa_group_segment_fixed_size 18432
		.amdhsa_private_segment_fixed_size 0
		.amdhsa_kernarg_size 104
		.amdhsa_user_sgpr_count 6
		.amdhsa_user_sgpr_private_segment_buffer 1
		.amdhsa_user_sgpr_dispatch_ptr 0
		.amdhsa_user_sgpr_queue_ptr 0
		.amdhsa_user_sgpr_kernarg_segment_ptr 1
		.amdhsa_user_sgpr_dispatch_id 0
		.amdhsa_user_sgpr_flat_scratch_init 0
		.amdhsa_user_sgpr_private_segment_size 0
		.amdhsa_wavefront_size32 1
		.amdhsa_uses_dynamic_stack 0
		.amdhsa_system_sgpr_private_segment_wavefront_offset 0
		.amdhsa_system_sgpr_workgroup_id_x 1
		.amdhsa_system_sgpr_workgroup_id_y 0
		.amdhsa_system_sgpr_workgroup_id_z 0
		.amdhsa_system_sgpr_workgroup_info 0
		.amdhsa_system_vgpr_workitem_id 0
		.amdhsa_next_free_vgpr 217
		.amdhsa_next_free_sgpr 20
		.amdhsa_reserve_vcc 1
		.amdhsa_reserve_flat_scratch 0
		.amdhsa_float_round_mode_32 0
		.amdhsa_float_round_mode_16_64 0
		.amdhsa_float_denorm_mode_32 3
		.amdhsa_float_denorm_mode_16_64 3
		.amdhsa_dx10_clamp 1
		.amdhsa_ieee_mode 1
		.amdhsa_fp16_overflow 0
		.amdhsa_workgroup_processor_mode 1
		.amdhsa_memory_ordered 1
		.amdhsa_forward_progress 0
		.amdhsa_shared_vgpr_count 0
		.amdhsa_exception_fp_ieee_invalid_op 0
		.amdhsa_exception_fp_denorm_src 0
		.amdhsa_exception_fp_ieee_div_zero 0
		.amdhsa_exception_fp_ieee_overflow 0
		.amdhsa_exception_fp_ieee_underflow 0
		.amdhsa_exception_fp_ieee_inexact 0
		.amdhsa_exception_int_div_zero 0
	.end_amdhsa_kernel
	.text
.Lfunc_end0:
	.size	bluestein_single_back_len1152_dim1_dp_op_CI_CI, .Lfunc_end0-bluestein_single_back_len1152_dim1_dp_op_CI_CI
                                        ; -- End function
	.section	.AMDGPU.csdata,"",@progbits
; Kernel info:
; codeLenInByte = 10012
; NumSgprs: 22
; NumVgprs: 217
; ScratchSize: 0
; MemoryBound: 0
; FloatMode: 240
; IeeeMode: 1
; LDSByteSize: 18432 bytes/workgroup (compile time only)
; SGPRBlocks: 2
; VGPRBlocks: 27
; NumSGPRsForWavesPerEU: 22
; NumVGPRsForWavesPerEU: 217
; Occupancy: 4
; WaveLimiterHint : 1
; COMPUTE_PGM_RSRC2:SCRATCH_EN: 0
; COMPUTE_PGM_RSRC2:USER_SGPR: 6
; COMPUTE_PGM_RSRC2:TRAP_HANDLER: 0
; COMPUTE_PGM_RSRC2:TGID_X_EN: 1
; COMPUTE_PGM_RSRC2:TGID_Y_EN: 0
; COMPUTE_PGM_RSRC2:TGID_Z_EN: 0
; COMPUTE_PGM_RSRC2:TIDIG_COMP_CNT: 0
	.text
	.p2alignl 6, 3214868480
	.fill 48, 4, 3214868480
	.type	__hip_cuid_dae9c14ea45316e5,@object ; @__hip_cuid_dae9c14ea45316e5
	.section	.bss,"aw",@nobits
	.globl	__hip_cuid_dae9c14ea45316e5
__hip_cuid_dae9c14ea45316e5:
	.byte	0                               ; 0x0
	.size	__hip_cuid_dae9c14ea45316e5, 1

	.ident	"AMD clang version 19.0.0git (https://github.com/RadeonOpenCompute/llvm-project roc-6.4.0 25133 c7fe45cf4b819c5991fe208aaa96edf142730f1d)"
	.section	".note.GNU-stack","",@progbits
	.addrsig
	.addrsig_sym __hip_cuid_dae9c14ea45316e5
	.amdgpu_metadata
---
amdhsa.kernels:
  - .args:
      - .actual_access:  read_only
        .address_space:  global
        .offset:         0
        .size:           8
        .value_kind:     global_buffer
      - .actual_access:  read_only
        .address_space:  global
        .offset:         8
        .size:           8
        .value_kind:     global_buffer
      - .actual_access:  read_only
        .address_space:  global
        .offset:         16
        .size:           8
        .value_kind:     global_buffer
      - .actual_access:  read_only
        .address_space:  global
        .offset:         24
        .size:           8
        .value_kind:     global_buffer
      - .actual_access:  read_only
        .address_space:  global
        .offset:         32
        .size:           8
        .value_kind:     global_buffer
      - .offset:         40
        .size:           8
        .value_kind:     by_value
      - .address_space:  global
        .offset:         48
        .size:           8
        .value_kind:     global_buffer
      - .address_space:  global
        .offset:         56
        .size:           8
        .value_kind:     global_buffer
      - .address_space:  global
        .offset:         64
        .size:           8
        .value_kind:     global_buffer
      - .address_space:  global
        .offset:         72
        .size:           8
        .value_kind:     global_buffer
      - .offset:         80
        .size:           4
        .value_kind:     by_value
      - .address_space:  global
        .offset:         88
        .size:           8
        .value_kind:     global_buffer
      - .address_space:  global
        .offset:         96
        .size:           8
        .value_kind:     global_buffer
    .group_segment_fixed_size: 18432
    .kernarg_segment_align: 8
    .kernarg_segment_size: 104
    .language:       OpenCL C
    .language_version:
      - 2
      - 0
    .max_flat_workgroup_size: 144
    .name:           bluestein_single_back_len1152_dim1_dp_op_CI_CI
    .private_segment_fixed_size: 0
    .sgpr_count:     22
    .sgpr_spill_count: 0
    .symbol:         bluestein_single_back_len1152_dim1_dp_op_CI_CI.kd
    .uniform_work_group_size: 1
    .uses_dynamic_stack: false
    .vgpr_count:     217
    .vgpr_spill_count: 0
    .wavefront_size: 32
    .workgroup_processor_mode: 1
amdhsa.target:   amdgcn-amd-amdhsa--gfx1030
amdhsa.version:
  - 1
  - 2
...

	.end_amdgpu_metadata
